;; amdgpu-corpus repo=ROCm/rocFFT kind=compiled arch=gfx1030 opt=O3
	.text
	.amdgcn_target "amdgcn-amd-amdhsa--gfx1030"
	.amdhsa_code_object_version 6
	.protected	fft_rtc_back_len650_factors_10_5_13_wgs_195_tpt_65_dp_ip_CI_unitstride_sbrr_C2R_dirReg ; -- Begin function fft_rtc_back_len650_factors_10_5_13_wgs_195_tpt_65_dp_ip_CI_unitstride_sbrr_C2R_dirReg
	.globl	fft_rtc_back_len650_factors_10_5_13_wgs_195_tpt_65_dp_ip_CI_unitstride_sbrr_C2R_dirReg
	.p2align	8
	.type	fft_rtc_back_len650_factors_10_5_13_wgs_195_tpt_65_dp_ip_CI_unitstride_sbrr_C2R_dirReg,@function
fft_rtc_back_len650_factors_10_5_13_wgs_195_tpt_65_dp_ip_CI_unitstride_sbrr_C2R_dirReg: ; @fft_rtc_back_len650_factors_10_5_13_wgs_195_tpt_65_dp_ip_CI_unitstride_sbrr_C2R_dirReg
; %bb.0:
	s_load_dwordx4 s[8:11], s[4:5], 0x0
	v_mul_u32_u24_e32 v1, 0x3f1, v0
	s_clause 0x1
	s_load_dwordx2 s[2:3], s[4:5], 0x50
	s_load_dwordx2 s[12:13], s[4:5], 0x18
	v_mov_b32_e32 v5, 0
	v_mov_b32_e32 v3, 0
	;; [unrolled: 1-line block ×3, first 2 shown]
	v_lshrrev_b32_e32 v1, 16, v1
	v_mad_u64_u32 v[1:2], null, s6, 3, v[1:2]
	v_mov_b32_e32 v2, v5
	v_mov_b32_e32 v10, v2
	;; [unrolled: 1-line block ×3, first 2 shown]
	s_waitcnt lgkmcnt(0)
	v_cmp_lt_u64_e64 s0, s[10:11], 2
	s_and_b32 vcc_lo, exec_lo, s0
	s_cbranch_vccnz .LBB0_8
; %bb.1:
	s_load_dwordx2 s[0:1], s[4:5], 0x10
	v_mov_b32_e32 v3, 0
	v_mov_b32_e32 v8, v2
	s_add_u32 s6, s12, 8
	v_mov_b32_e32 v4, 0
	v_mov_b32_e32 v7, v1
	s_addc_u32 s7, s13, 0
	s_mov_b64 s[16:17], 1
	s_waitcnt lgkmcnt(0)
	s_add_u32 s14, s0, 8
	s_addc_u32 s15, s1, 0
.LBB0_2:                                ; =>This Inner Loop Header: Depth=1
	s_load_dwordx2 s[18:19], s[14:15], 0x0
                                        ; implicit-def: $vgpr9_vgpr10
	s_mov_b32 s0, exec_lo
	s_waitcnt lgkmcnt(0)
	v_or_b32_e32 v6, s19, v8
	v_cmpx_ne_u64_e32 0, v[5:6]
	s_xor_b32 s1, exec_lo, s0
	s_cbranch_execz .LBB0_4
; %bb.3:                                ;   in Loop: Header=BB0_2 Depth=1
	v_cvt_f32_u32_e32 v2, s18
	v_cvt_f32_u32_e32 v6, s19
	s_sub_u32 s0, 0, s18
	s_subb_u32 s20, 0, s19
	v_fmac_f32_e32 v2, 0x4f800000, v6
	v_rcp_f32_e32 v2, v2
	v_mul_f32_e32 v2, 0x5f7ffffc, v2
	v_mul_f32_e32 v6, 0x2f800000, v2
	v_trunc_f32_e32 v6, v6
	v_fmac_f32_e32 v2, 0xcf800000, v6
	v_cvt_u32_f32_e32 v6, v6
	v_cvt_u32_f32_e32 v2, v2
	v_mul_lo_u32 v9, s0, v6
	v_mul_hi_u32 v10, s0, v2
	v_mul_lo_u32 v11, s20, v2
	v_add_nc_u32_e32 v9, v10, v9
	v_mul_lo_u32 v10, s0, v2
	v_add_nc_u32_e32 v9, v9, v11
	v_mul_hi_u32 v11, v2, v10
	v_mul_lo_u32 v12, v2, v9
	v_mul_hi_u32 v13, v2, v9
	v_mul_hi_u32 v14, v6, v10
	v_mul_lo_u32 v10, v6, v10
	v_mul_hi_u32 v15, v6, v9
	v_mul_lo_u32 v9, v6, v9
	v_add_co_u32 v11, vcc_lo, v11, v12
	v_add_co_ci_u32_e32 v12, vcc_lo, 0, v13, vcc_lo
	v_add_co_u32 v10, vcc_lo, v11, v10
	v_add_co_ci_u32_e32 v10, vcc_lo, v12, v14, vcc_lo
	v_add_co_ci_u32_e32 v11, vcc_lo, 0, v15, vcc_lo
	v_add_co_u32 v9, vcc_lo, v10, v9
	v_add_co_ci_u32_e32 v10, vcc_lo, 0, v11, vcc_lo
	v_add_co_u32 v2, vcc_lo, v2, v9
	v_add_co_ci_u32_e32 v6, vcc_lo, v6, v10, vcc_lo
	v_mul_hi_u32 v9, s0, v2
	v_mul_lo_u32 v11, s20, v2
	v_mul_lo_u32 v10, s0, v6
	v_add_nc_u32_e32 v9, v9, v10
	v_mul_lo_u32 v10, s0, v2
	v_add_nc_u32_e32 v9, v9, v11
	v_mul_hi_u32 v11, v2, v10
	v_mul_lo_u32 v12, v2, v9
	v_mul_hi_u32 v13, v2, v9
	v_mul_hi_u32 v14, v6, v10
	v_mul_lo_u32 v10, v6, v10
	v_mul_hi_u32 v15, v6, v9
	v_mul_lo_u32 v9, v6, v9
	v_add_co_u32 v11, vcc_lo, v11, v12
	v_add_co_ci_u32_e32 v12, vcc_lo, 0, v13, vcc_lo
	v_add_co_u32 v10, vcc_lo, v11, v10
	v_add_co_ci_u32_e32 v10, vcc_lo, v12, v14, vcc_lo
	v_add_co_ci_u32_e32 v11, vcc_lo, 0, v15, vcc_lo
	v_add_co_u32 v9, vcc_lo, v10, v9
	v_add_co_ci_u32_e32 v10, vcc_lo, 0, v11, vcc_lo
	v_add_co_u32 v2, vcc_lo, v2, v9
	v_add_co_ci_u32_e32 v6, vcc_lo, v6, v10, vcc_lo
	v_mul_hi_u32 v15, v7, v2
	v_mad_u64_u32 v[11:12], null, v8, v2, 0
	v_mad_u64_u32 v[9:10], null, v7, v6, 0
	v_mad_u64_u32 v[13:14], null, v8, v6, 0
	v_add_co_u32 v2, vcc_lo, v15, v9
	v_add_co_ci_u32_e32 v6, vcc_lo, 0, v10, vcc_lo
	v_add_co_u32 v2, vcc_lo, v2, v11
	v_add_co_ci_u32_e32 v2, vcc_lo, v6, v12, vcc_lo
	v_add_co_ci_u32_e32 v6, vcc_lo, 0, v14, vcc_lo
	v_add_co_u32 v2, vcc_lo, v2, v13
	v_add_co_ci_u32_e32 v6, vcc_lo, 0, v6, vcc_lo
	v_mul_lo_u32 v11, s19, v2
	v_mad_u64_u32 v[9:10], null, s18, v2, 0
	v_mul_lo_u32 v12, s18, v6
	v_sub_co_u32 v9, vcc_lo, v7, v9
	v_add3_u32 v10, v10, v12, v11
	v_sub_nc_u32_e32 v11, v8, v10
	v_subrev_co_ci_u32_e64 v11, s0, s19, v11, vcc_lo
	v_add_co_u32 v12, s0, v2, 2
	v_add_co_ci_u32_e64 v13, s0, 0, v6, s0
	v_sub_co_u32 v14, s0, v9, s18
	v_sub_co_ci_u32_e32 v10, vcc_lo, v8, v10, vcc_lo
	v_subrev_co_ci_u32_e64 v11, s0, 0, v11, s0
	v_cmp_le_u32_e32 vcc_lo, s18, v14
	v_cmp_eq_u32_e64 s0, s19, v10
	v_cndmask_b32_e64 v14, 0, -1, vcc_lo
	v_cmp_le_u32_e32 vcc_lo, s19, v11
	v_cndmask_b32_e64 v15, 0, -1, vcc_lo
	v_cmp_le_u32_e32 vcc_lo, s18, v9
	;; [unrolled: 2-line block ×3, first 2 shown]
	v_cndmask_b32_e64 v16, 0, -1, vcc_lo
	v_cmp_eq_u32_e32 vcc_lo, s19, v11
	v_cndmask_b32_e64 v9, v16, v9, s0
	v_cndmask_b32_e32 v11, v15, v14, vcc_lo
	v_add_co_u32 v14, vcc_lo, v2, 1
	v_add_co_ci_u32_e32 v15, vcc_lo, 0, v6, vcc_lo
	v_cmp_ne_u32_e32 vcc_lo, 0, v11
	v_cndmask_b32_e32 v10, v15, v13, vcc_lo
	v_cndmask_b32_e32 v11, v14, v12, vcc_lo
	v_cmp_ne_u32_e32 vcc_lo, 0, v9
	v_cndmask_b32_e32 v10, v6, v10, vcc_lo
	v_cndmask_b32_e32 v9, v2, v11, vcc_lo
.LBB0_4:                                ;   in Loop: Header=BB0_2 Depth=1
	s_andn2_saveexec_b32 s0, s1
	s_cbranch_execz .LBB0_6
; %bb.5:                                ;   in Loop: Header=BB0_2 Depth=1
	v_cvt_f32_u32_e32 v2, s18
	s_sub_i32 s1, 0, s18
	v_rcp_iflag_f32_e32 v2, v2
	v_mul_f32_e32 v2, 0x4f7ffffe, v2
	v_cvt_u32_f32_e32 v2, v2
	v_mul_lo_u32 v6, s1, v2
	v_mul_hi_u32 v6, v2, v6
	v_add_nc_u32_e32 v2, v2, v6
	v_mul_hi_u32 v2, v7, v2
	v_mul_lo_u32 v6, v2, s18
	v_add_nc_u32_e32 v9, 1, v2
	v_sub_nc_u32_e32 v6, v7, v6
	v_subrev_nc_u32_e32 v10, s18, v6
	v_cmp_le_u32_e32 vcc_lo, s18, v6
	v_cndmask_b32_e32 v6, v6, v10, vcc_lo
	v_cndmask_b32_e32 v2, v2, v9, vcc_lo
	v_mov_b32_e32 v10, v5
	v_cmp_le_u32_e32 vcc_lo, s18, v6
	v_add_nc_u32_e32 v9, 1, v2
	v_cndmask_b32_e32 v9, v2, v9, vcc_lo
.LBB0_6:                                ;   in Loop: Header=BB0_2 Depth=1
	s_or_b32 exec_lo, exec_lo, s0
	s_load_dwordx2 s[0:1], s[6:7], 0x0
	v_mul_lo_u32 v2, v10, s18
	v_mul_lo_u32 v6, v9, s19
	v_mad_u64_u32 v[11:12], null, v9, s18, 0
	s_add_u32 s16, s16, 1
	s_addc_u32 s17, s17, 0
	s_add_u32 s6, s6, 8
	s_addc_u32 s7, s7, 0
	;; [unrolled: 2-line block ×3, first 2 shown]
	v_add3_u32 v2, v12, v6, v2
	v_sub_co_u32 v6, vcc_lo, v7, v11
	v_sub_co_ci_u32_e32 v2, vcc_lo, v8, v2, vcc_lo
	s_waitcnt lgkmcnt(0)
	v_mul_lo_u32 v7, s1, v6
	v_mul_lo_u32 v2, s0, v2
	v_mad_u64_u32 v[3:4], null, s0, v6, v[3:4]
	v_cmp_ge_u64_e64 s0, s[16:17], s[10:11]
	s_and_b32 vcc_lo, exec_lo, s0
	v_add3_u32 v4, v7, v4, v2
	s_cbranch_vccnz .LBB0_8
; %bb.7:                                ;   in Loop: Header=BB0_2 Depth=1
	v_mov_b32_e32 v7, v9
	v_mov_b32_e32 v8, v10
	s_branch .LBB0_2
.LBB0_8:
	s_lshl_b64 s[0:1], s[10:11], 3
	v_mul_hi_u32 v2, 0xaaaaaaab, v1
	s_add_u32 s0, s12, s0
	s_addc_u32 s1, s13, s1
	s_load_dwordx2 s[4:5], s[4:5], 0x20
	s_load_dwordx2 s[0:1], s[0:1], 0x0
	v_mul_hi_u32 v5, 0x3f03f04, v0
	v_lshrrev_b32_e32 v2, 1, v2
	v_lshl_add_u32 v6, v2, 1, v2
	v_sub_nc_u32_e32 v1, v1, v6
	s_waitcnt lgkmcnt(0)
	v_cmp_gt_u64_e32 vcc_lo, s[4:5], v[9:10]
	v_mul_lo_u32 v7, s0, v10
	v_mul_lo_u32 v8, s1, v9
	v_mad_u64_u32 v[2:3], null, s0, v9, v[3:4]
	v_mul_u32_u24_e32 v4, 0x41, v5
	v_mul_u32_u24_e32 v1, 0x28b, v1
	v_sub_nc_u32_e32 v52, v0, v4
	v_add3_u32 v3, v8, v3, v7
	v_lshlrev_b32_e32 v44, 4, v1
	v_lshlrev_b64 v[54:55], 4, v[2:3]
	s_and_saveexec_b32 s1, vcc_lo
	s_cbranch_execz .LBB0_12
; %bb.9:
	v_mov_b32_e32 v53, 0
	v_add_co_u32 v0, s0, s2, v54
	v_add_co_ci_u32_e64 v2, s0, s3, v55, s0
	v_lshlrev_b64 v[3:4], 4, v[52:53]
	s_mov_b32 s4, exec_lo
	v_add_co_u32 v20, s0, v0, v3
	v_add_co_ci_u32_e64 v21, s0, v2, v4, s0
	v_lshlrev_b32_e32 v3, 4, v52
	v_add_co_u32 v16, s0, 0x800, v20
	v_add_co_ci_u32_e64 v17, s0, 0, v21, s0
	v_add_co_u32 v24, s0, 0x1000, v20
	v_add_co_ci_u32_e64 v25, s0, 0, v21, s0
	;; [unrolled: 2-line block ×4, first 2 shown]
	s_clause 0x9
	global_load_dwordx4 v[4:7], v[20:21], off
	global_load_dwordx4 v[8:11], v[20:21], off offset:1040
	global_load_dwordx4 v[12:15], v[16:17], off offset:32
	;; [unrolled: 1-line block ×9, first 2 shown]
	v_add3_u32 v3, 0, v44, v3
	s_waitcnt vmcnt(9)
	ds_write_b128 v3, v[4:7]
	s_waitcnt vmcnt(8)
	ds_write_b128 v3, v[8:11] offset:1040
	s_waitcnt vmcnt(7)
	ds_write_b128 v3, v[12:15] offset:2080
	;; [unrolled: 2-line block ×9, first 2 shown]
	v_cmpx_eq_u32_e32 64, v52
	s_cbranch_execz .LBB0_11
; %bb.10:
	v_add_co_u32 v4, s0, 0x2800, v0
	v_add_co_ci_u32_e64 v5, s0, 0, v2, s0
	v_mov_b32_e32 v52, 64
	global_load_dwordx4 v[4:7], v[4:5], off offset:160
	s_waitcnt vmcnt(0)
	ds_write_b128 v3, v[4:7] offset:9376
.LBB0_11:
	s_or_b32 exec_lo, exec_lo, s4
.LBB0_12:
	s_or_b32 exec_lo, exec_lo, s1
	v_lshl_add_u32 v164, v1, 4, 0
	v_lshlrev_b32_e32 v10, 4, v52
	s_waitcnt lgkmcnt(0)
	s_barrier
	buffer_gl0_inv
	s_add_u32 s1, s8, 0x2800
	v_add_nc_u32_e32 v165, v164, v10
	v_sub_nc_u32_e32 v11, v164, v10
	s_addc_u32 s4, s9, 0
	s_mov_b32 s5, exec_lo
	ds_read_b64 v[6:7], v165
	ds_read_b64 v[8:9], v11 offset:10400
                                        ; implicit-def: $vgpr4_vgpr5
	s_waitcnt lgkmcnt(0)
	v_add_f64 v[0:1], v[6:7], v[8:9]
	v_add_f64 v[2:3], v[6:7], -v[8:9]
	v_cmpx_ne_u32_e32 0, v52
	s_xor_b32 s5, exec_lo, s5
	s_cbranch_execz .LBB0_14
; %bb.13:
	v_mov_b32_e32 v53, 0
	v_add_f64 v[14:15], v[6:7], v[8:9]
	v_add_f64 v[16:17], v[6:7], -v[8:9]
	v_lshlrev_b64 v[0:1], 4, v[52:53]
	v_add_co_u32 v0, s0, s1, v0
	v_add_co_ci_u32_e64 v1, s0, s4, v1, s0
	global_load_dwordx4 v[2:5], v[0:1], off
	ds_read_b64 v[0:1], v11 offset:10408
	ds_read_b64 v[12:13], v165 offset:8
	s_waitcnt lgkmcnt(0)
	v_add_f64 v[6:7], v[0:1], v[12:13]
	v_add_f64 v[0:1], v[12:13], -v[0:1]
	s_waitcnt vmcnt(0)
	v_fma_f64 v[8:9], v[16:17], v[4:5], v[14:15]
	v_fma_f64 v[12:13], -v[16:17], v[4:5], v[14:15]
	v_fma_f64 v[14:15], v[6:7], v[4:5], -v[0:1]
	v_fma_f64 v[4:5], v[6:7], v[4:5], v[0:1]
	v_fma_f64 v[0:1], -v[6:7], v[2:3], v[8:9]
	v_fma_f64 v[6:7], v[6:7], v[2:3], v[12:13]
	v_fma_f64 v[8:9], v[16:17], v[2:3], v[14:15]
	;; [unrolled: 1-line block ×3, first 2 shown]
	v_mov_b32_e32 v4, v52
	v_mov_b32_e32 v5, v53
	ds_write_b128 v11, v[6:9] offset:10400
.LBB0_14:
	s_andn2_saveexec_b32 s0, s5
	s_cbranch_execz .LBB0_16
; %bb.15:
	ds_read_b128 v[4:7], v164 offset:5200
	s_waitcnt lgkmcnt(0)
	v_add_f64 v[12:13], v[4:5], v[4:5]
	v_mul_f64 v[14:15], v[6:7], -2.0
	v_mov_b32_e32 v4, 0
	v_mov_b32_e32 v5, 0
	ds_write_b128 v164, v[12:15] offset:5200
.LBB0_16:
	s_or_b32 exec_lo, exec_lo, s0
	v_lshlrev_b64 v[4:5], 4, v[4:5]
	v_add3_u32 v53, 0, v10, v44
	s_mov_b32 s10, 0x134454ff
	s_mov_b32 s11, 0xbfee6f0e
	;; [unrolled: 1-line block ×4, first 2 shown]
	v_add_co_u32 v8, s0, s1, v4
	v_add_co_ci_u32_e64 v9, s0, s4, v5, s0
	s_mov_b32 s4, 0x4755a5e
	v_add_co_u32 v16, s0, 0x800, v8
	global_load_dwordx4 v[4:7], v[8:9], off offset:1040
	v_add_co_ci_u32_e64 v17, s0, 0, v9, s0
	v_add_co_u32 v8, s0, 0x1000, v8
	s_clause 0x1
	global_load_dwordx4 v[12:15], v[16:17], off offset:32
	global_load_dwordx4 v[16:19], v[16:17], off offset:1072
	v_add_co_ci_u32_e64 v9, s0, 0, v9, s0
	ds_write_b128 v165, v[0:3]
	ds_read_b128 v[0:3], v165 offset:1040
	ds_read_b128 v[20:23], v11 offset:9360
	s_mov_b32 s5, 0xbfe2cf23
	global_load_dwordx4 v[24:27], v[8:9], off offset:64
	s_mov_b32 s7, 0x3fe2cf23
	s_mov_b32 s6, s4
	;; [unrolled: 1-line block ×10, first 2 shown]
	v_and_b32_e32 v51, 0xff, v52
	v_mov_b32_e32 v112, 4
	v_mul_lo_u16 v51, 0xcd, v51
	s_waitcnt lgkmcnt(0)
	v_add_f64 v[8:9], v[0:1], v[20:21]
	v_add_f64 v[28:29], v[22:23], v[2:3]
	v_add_f64 v[20:21], v[0:1], -v[20:21]
	v_add_f64 v[0:1], v[2:3], -v[22:23]
	v_lshrrev_b16 v51, 11, v51
	s_waitcnt vmcnt(3)
	v_fma_f64 v[2:3], v[20:21], v[6:7], v[8:9]
	v_fma_f64 v[22:23], v[28:29], v[6:7], v[0:1]
	v_fma_f64 v[8:9], -v[20:21], v[6:7], v[8:9]
	v_fma_f64 v[30:31], v[28:29], v[6:7], -v[0:1]
	v_fma_f64 v[0:1], -v[28:29], v[4:5], v[2:3]
	v_fma_f64 v[2:3], v[20:21], v[4:5], v[22:23]
	v_fma_f64 v[6:7], v[28:29], v[4:5], v[8:9]
	v_fma_f64 v[8:9], v[20:21], v[4:5], v[30:31]
	ds_write_b128 v165, v[0:3] offset:1040
	ds_write_b128 v11, v[6:9] offset:9360
	ds_read_b128 v[0:3], v165 offset:2080
	ds_read_b128 v[4:7], v11 offset:8320
	s_waitcnt lgkmcnt(0)
	v_add_f64 v[8:9], v[0:1], v[4:5]
	v_add_f64 v[20:21], v[6:7], v[2:3]
	v_add_f64 v[22:23], v[0:1], -v[4:5]
	v_add_f64 v[0:1], v[2:3], -v[6:7]
	s_waitcnt vmcnt(2)
	v_fma_f64 v[2:3], v[22:23], v[14:15], v[8:9]
	v_fma_f64 v[4:5], v[20:21], v[14:15], v[0:1]
	v_fma_f64 v[6:7], -v[22:23], v[14:15], v[8:9]
	v_fma_f64 v[8:9], v[20:21], v[14:15], -v[0:1]
	v_fma_f64 v[0:1], -v[20:21], v[12:13], v[2:3]
	v_fma_f64 v[2:3], v[22:23], v[12:13], v[4:5]
	v_fma_f64 v[4:5], v[20:21], v[12:13], v[6:7]
	v_fma_f64 v[6:7], v[22:23], v[12:13], v[8:9]
	ds_write_b128 v165, v[0:3] offset:2080
	ds_write_b128 v11, v[4:7] offset:8320
	ds_read_b128 v[0:3], v165 offset:3120
	ds_read_b128 v[4:7], v11 offset:7280
	s_waitcnt lgkmcnt(0)
	v_add_f64 v[8:9], v[0:1], v[4:5]
	v_add_f64 v[12:13], v[6:7], v[2:3]
	v_add_f64 v[14:15], v[0:1], -v[4:5]
	v_add_f64 v[0:1], v[2:3], -v[6:7]
	s_waitcnt vmcnt(1)
	v_fma_f64 v[2:3], v[14:15], v[18:19], v[8:9]
	v_fma_f64 v[4:5], v[12:13], v[18:19], v[0:1]
	v_fma_f64 v[6:7], -v[14:15], v[18:19], v[8:9]
	v_fma_f64 v[8:9], v[12:13], v[18:19], -v[0:1]
	v_fma_f64 v[0:1], -v[12:13], v[16:17], v[2:3]
	v_fma_f64 v[2:3], v[14:15], v[16:17], v[4:5]
	v_fma_f64 v[4:5], v[12:13], v[16:17], v[6:7]
	v_fma_f64 v[6:7], v[14:15], v[16:17], v[8:9]
	ds_write_b128 v165, v[0:3] offset:3120
	ds_write_b128 v11, v[4:7] offset:7280
	ds_read_b128 v[0:3], v165 offset:4160
	ds_read_b128 v[4:7], v11 offset:6240
	s_waitcnt lgkmcnt(0)
	v_add_f64 v[8:9], v[0:1], v[4:5]
	v_add_f64 v[12:13], v[6:7], v[2:3]
	v_add_f64 v[14:15], v[0:1], -v[4:5]
	v_add_f64 v[0:1], v[2:3], -v[6:7]
	s_waitcnt vmcnt(0)
	v_fma_f64 v[2:3], v[14:15], v[26:27], v[8:9]
	v_fma_f64 v[4:5], v[12:13], v[26:27], v[0:1]
	v_fma_f64 v[6:7], -v[14:15], v[26:27], v[8:9]
	v_fma_f64 v[8:9], v[12:13], v[26:27], -v[0:1]
	v_fma_f64 v[0:1], -v[12:13], v[24:25], v[2:3]
	v_fma_f64 v[2:3], v[14:15], v[24:25], v[4:5]
	v_fma_f64 v[4:5], v[12:13], v[24:25], v[6:7]
	;; [unrolled: 1-line block ×3, first 2 shown]
	ds_write_b128 v165, v[0:3] offset:4160
	ds_write_b128 v11, v[4:7] offset:6240
	s_waitcnt lgkmcnt(0)
	s_barrier
	buffer_gl0_inv
	s_barrier
	buffer_gl0_inv
	ds_read_b128 v[24:27], v53 offset:3120
	ds_read_b128 v[16:19], v53 offset:5200
	;; [unrolled: 1-line block ×8, first 2 shown]
	ds_read_b128 v[32:35], v165
	ds_read_b128 v[36:39], v53 offset:1040
	s_waitcnt lgkmcnt(0)
	s_barrier
	buffer_gl0_inv
	v_add_f64 v[84:85], v[24:25], -v[16:17]
	v_add_f64 v[40:41], v[18:19], v[10:11]
	v_add_f64 v[42:43], v[26:27], v[2:3]
	v_add_f64 v[45:46], v[16:17], v[8:9]
	v_add_f64 v[60:61], v[24:25], v[0:1]
	v_add_f64 v[62:63], v[16:17], -v[8:9]
	v_add_f64 v[64:65], v[24:25], -v[0:1]
	;; [unrolled: 1-line block ×3, first 2 shown]
	v_add_f64 v[47:48], v[20:21], v[12:13]
	v_add_f64 v[49:50], v[28:29], v[4:5]
	;; [unrolled: 1-line block ×4, first 2 shown]
	v_add_f64 v[82:83], v[18:19], -v[10:11]
	v_add_f64 v[86:87], v[26:27], -v[18:19]
	;; [unrolled: 1-line block ×6, first 2 shown]
	v_add_f64 v[68:69], v[32:33], v[28:29]
	v_add_f64 v[70:71], v[34:35], v[30:31]
	;; [unrolled: 1-line block ×3, first 2 shown]
	v_add_f64 v[72:73], v[30:31], -v[6:7]
	v_add_f64 v[74:75], v[28:29], -v[20:21]
	v_fma_f64 v[40:41], v[40:41], -0.5, v[38:39]
	v_fma_f64 v[42:43], v[42:43], -0.5, v[38:39]
	;; [unrolled: 1-line block ×4, first 2 shown]
	v_add_f64 v[36:37], v[36:37], v[24:25]
	v_add_f64 v[76:77], v[20:21], -v[28:29]
	v_add_f64 v[28:29], v[28:29], -v[4:5]
	;; [unrolled: 1-line block ×6, first 2 shown]
	v_fma_f64 v[47:48], v[47:48], -0.5, v[32:33]
	v_fma_f64 v[32:33], v[49:50], -0.5, v[32:33]
	;; [unrolled: 1-line block ×4, first 2 shown]
	v_add_f64 v[56:57], v[84:85], v[90:91]
	v_add_f64 v[58:59], v[86:87], v[92:93]
	;; [unrolled: 1-line block ×3, first 2 shown]
	v_add_f64 v[96:97], v[20:21], -v[12:13]
	v_add_f64 v[104:105], v[4:5], -v[12:13]
	v_add_f64 v[78:79], v[30:31], -v[22:23]
	v_add_f64 v[30:31], v[22:23], -v[30:31]
	v_fma_f64 v[98:99], v[64:65], s[12:13], v[40:41]
	v_fma_f64 v[100:101], v[62:63], s[10:11], v[42:43]
	;; [unrolled: 1-line block ×8, first 2 shown]
	v_add_f64 v[20:21], v[68:69], v[20:21]
	v_add_f64 v[22:23], v[70:71], v[22:23]
	;; [unrolled: 1-line block ×4, first 2 shown]
	v_add_f64 v[108:109], v[6:7], -v[14:15]
	v_add_f64 v[38:39], v[14:15], -v[6:7]
	v_add_f64 v[36:37], v[76:77], v[106:107]
	v_add_f64 v[24:25], v[24:25], v[110:111]
	v_fma_f64 v[68:69], v[80:81], s[12:13], v[32:33]
	v_fma_f64 v[32:33], v[80:81], s[10:11], v[32:33]
	;; [unrolled: 1-line block ×4, first 2 shown]
	v_add_f64 v[26:27], v[74:75], v[104:105]
	v_fma_f64 v[74:75], v[96:97], s[10:11], v[34:35]
	v_fma_f64 v[88:89], v[62:63], s[6:7], v[98:99]
	;; [unrolled: 1-line block ×12, first 2 shown]
	v_add_f64 v[12:13], v[20:21], v[12:13]
	v_add_f64 v[14:15], v[22:23], v[14:15]
	v_add_f64 v[8:9], v[16:17], v[8:9]
	v_add_f64 v[10:11], v[18:19], v[10:11]
	v_add_f64 v[30:31], v[30:31], v[38:39]
	v_fma_f64 v[20:21], v[72:73], s[4:5], v[68:69]
	v_fma_f64 v[22:23], v[72:73], s[6:7], v[32:33]
	;; [unrolled: 1-line block ×9, first 2 shown]
	v_add_f64 v[58:59], v[78:79], v[108:109]
	v_fma_f64 v[16:17], v[80:81], s[4:5], v[62:63]
	v_fma_f64 v[18:19], v[80:81], s[6:7], v[47:48]
	;; [unrolled: 1-line block ×7, first 2 shown]
	v_add_f64 v[4:5], v[12:13], v[4:5]
	v_add_f64 v[6:7], v[14:15], v[6:7]
	;; [unrolled: 1-line block ×4, first 2 shown]
	v_fma_f64 v[74:75], v[36:37], s[0:1], v[20:21]
	v_fma_f64 v[36:37], v[36:37], s[0:1], v[22:23]
	v_add_nc_u16 v76, v52, 0x41
	v_mul_f64 v[60:61], v[66:67], s[4:5]
	v_mul_f64 v[62:63], v[86:87], s[10:11]
	;; [unrolled: 1-line block ×8, first 2 shown]
	v_fma_f64 v[15:16], v[26:27], s[0:1], v[16:17]
	v_fma_f64 v[72:73], v[26:27], s[0:1], v[18:19]
	;; [unrolled: 1-line block ×5, first 2 shown]
	v_and_b32_e32 v0, 0xff, v76
	v_add_f64 v[2:3], v[6:7], v[10:11]
	v_add_f64 v[6:7], v[6:7], -v[10:11]
	v_fma_f64 v[21:22], v[64:65], s[14:15], v[60:61]
	v_fma_f64 v[32:33], v[49:50], s[0:1], v[62:63]
	;; [unrolled: 1-line block ×9, first 2 shown]
	v_mul_lo_u16 v56, 0xcd, v0
	v_add_f64 v[0:1], v[4:5], v[8:9]
	v_add_f64 v[4:5], v[4:5], -v[8:9]
	v_mul_lo_u16 v57, v51, 10
	v_and_b32_e32 v51, 0xffff, v51
	v_lshrrev_b16 v110, 11, v56
	v_sub_nc_u16 v8, v52, v57
	v_add_f64 v[9:10], v[15:16], v[21:22]
	v_add_f64 v[13:14], v[74:75], v[32:33]
	v_add_f64 v[21:22], v[15:16], -v[21:22]
	v_add_f64 v[11:12], v[19:20], v[26:27]
	v_add_f64 v[15:16], v[47:48], v[49:50]
	;; [unrolled: 1-line block ×3, first 2 shown]
	v_add_f64 v[23:24], v[19:20], -v[26:27]
	v_add_f64 v[19:20], v[60:61], v[42:43]
	v_add_f64 v[25:26], v[72:73], v[45:46]
	;; [unrolled: 1-line block ×3, first 2 shown]
	v_add_f64 v[29:30], v[74:75], -v[32:33]
	v_add_f64 v[31:32], v[47:48], -v[49:50]
	;; [unrolled: 1-line block ×6, first 2 shown]
	v_mul_lo_u16 v43, v110, 10
	v_mov_b32_e32 v41, 6
	v_mad_u32_u24 v42, 0x90, v52, v53
	ds_write_b128 v42, v[0:3]
	ds_write_b128 v42, v[4:7] offset:80
	ds_write_b128 v42, v[9:12] offset:16
	ds_write_b128 v42, v[13:16] offset:32
	ds_write_b128 v42, v[17:20] offset:48
	ds_write_b128 v42, v[25:28] offset:64
	ds_write_b128 v42, v[21:24] offset:96
	ds_write_b128 v42, v[29:32] offset:112
	ds_write_b128 v42, v[33:36] offset:128
	ds_write_b128 v42, v[37:40] offset:144
	v_sub_nc_u16 v111, v76, v43
	v_lshlrev_b32_sdwa v45, v41, v8 dst_sel:DWORD dst_unused:UNUSED_PAD src0_sel:DWORD src1_sel:BYTE_0
	s_waitcnt lgkmcnt(0)
	s_barrier
	buffer_gl0_inv
	v_lshlrev_b32_sdwa v29, v41, v111 dst_sel:DWORD dst_unused:UNUSED_PAD src0_sel:DWORD src1_sel:BYTE_0
	s_clause 0x7
	global_load_dwordx4 v[0:3], v45, s[8:9]
	global_load_dwordx4 v[4:7], v45, s[8:9] offset:16
	global_load_dwordx4 v[9:12], v45, s[8:9] offset:32
	;; [unrolled: 1-line block ×3, first 2 shown]
	global_load_dwordx4 v[17:20], v29, s[8:9]
	global_load_dwordx4 v[21:24], v29, s[8:9] offset:16
	global_load_dwordx4 v[25:28], v29, s[8:9] offset:32
	;; [unrolled: 1-line block ×3, first 2 shown]
	ds_read_b128 v[33:36], v53 offset:2080
	ds_read_b128 v[37:40], v53 offset:4160
	;; [unrolled: 1-line block ×8, first 2 shown]
	v_lshlrev_b32_sdwa v8, v112, v8 dst_sel:DWORD dst_unused:UNUSED_PAD src0_sel:DWORD src1_sel:BYTE_0
	s_waitcnt vmcnt(7) lgkmcnt(7)
	v_mul_f64 v[41:42], v[35:36], v[2:3]
	v_mul_f64 v[2:3], v[33:34], v[2:3]
	s_waitcnt vmcnt(6) lgkmcnt(6)
	v_mul_f64 v[49:50], v[39:40], v[6:7]
	v_mul_f64 v[6:7], v[37:38], v[6:7]
	s_waitcnt vmcnt(5) lgkmcnt(5)
	v_mul_f64 v[76:77], v[47:48], v[11:12]
	s_waitcnt vmcnt(4) lgkmcnt(4)
	v_mul_f64 v[78:79], v[58:59], v[15:16]
	v_mul_f64 v[11:12], v[45:46], v[11:12]
	;; [unrolled: 1-line block ×3, first 2 shown]
	s_waitcnt vmcnt(3) lgkmcnt(3)
	v_mul_f64 v[80:81], v[62:63], v[19:20]
	v_mul_f64 v[19:20], v[60:61], v[19:20]
	s_waitcnt vmcnt(2) lgkmcnt(2)
	v_mul_f64 v[82:83], v[66:67], v[23:24]
	v_mul_f64 v[23:24], v[64:65], v[23:24]
	;; [unrolled: 3-line block ×4, first 2 shown]
	v_fma_f64 v[33:34], v[33:34], v[0:1], v[41:42]
	v_fma_f64 v[35:36], v[35:36], v[0:1], -v[2:3]
	v_fma_f64 v[37:38], v[37:38], v[4:5], v[49:50]
	v_fma_f64 v[39:40], v[39:40], v[4:5], -v[6:7]
	v_fma_f64 v[41:42], v[45:46], v[9:10], v[76:77]
	v_fma_f64 v[45:46], v[56:57], v[13:14], v[78:79]
	v_fma_f64 v[9:10], v[47:48], v[9:10], -v[11:12]
	v_fma_f64 v[11:12], v[58:59], v[13:14], -v[15:16]
	v_fma_f64 v[13:14], v[60:61], v[17:18], v[80:81]
	v_fma_f64 v[15:16], v[62:63], v[17:18], -v[19:20]
	v_fma_f64 v[17:18], v[64:65], v[21:22], v[82:83]
	;; [unrolled: 2-line block ×4, first 2 shown]
	v_fma_f64 v[27:28], v[74:75], v[29:30], -v[31:32]
	ds_read_b128 v[0:3], v165
	ds_read_b128 v[4:7], v53 offset:1040
	s_waitcnt lgkmcnt(0)
	s_barrier
	buffer_gl0_inv
	v_add_f64 v[70:71], v[33:34], -v[37:38]
	v_add_f64 v[62:63], v[35:36], -v[39:40]
	v_add_f64 v[29:30], v[37:38], v[41:42]
	v_add_f64 v[31:32], v[33:34], v[45:46]
	;; [unrolled: 1-line block ×4, first 2 shown]
	v_add_f64 v[60:61], v[35:36], -v[11:12]
	v_add_f64 v[64:65], v[39:40], -v[9:10]
	;; [unrolled: 1-line block ×4, first 2 shown]
	v_add_f64 v[80:81], v[17:18], v[21:22]
	v_add_f64 v[84:85], v[19:20], v[25:26]
	;; [unrolled: 1-line block ×6, first 2 shown]
	v_add_f64 v[35:36], v[39:40], -v[35:36]
	v_add_f64 v[72:73], v[37:38], -v[33:34]
	;; [unrolled: 1-line block ×6, first 2 shown]
	v_add_f64 v[88:89], v[6:7], v[15:16]
	v_add_f64 v[90:91], v[4:5], v[13:14]
	v_add_f64 v[92:93], v[15:16], -v[27:28]
	v_add_f64 v[96:97], v[19:20], -v[25:26]
	v_add_f64 v[98:99], v[13:14], -v[17:18]
	v_add_f64 v[100:101], v[17:18], -v[13:14]
	v_fma_f64 v[29:30], v[29:30], -0.5, v[0:1]
	v_fma_f64 v[47:48], v[47:48], -0.5, v[2:3]
	;; [unrolled: 1-line block ×4, first 2 shown]
	v_add_f64 v[13:14], v[13:14], -v[23:24]
	v_add_f64 v[31:32], v[17:18], -v[21:22]
	v_fma_f64 v[49:50], v[80:81], -0.5, v[4:5]
	v_add_f64 v[39:40], v[56:57], v[39:40]
	v_fma_f64 v[56:57], v[84:85], -0.5, v[6:7]
	v_fma_f64 v[4:5], v[82:83], -0.5, v[4:5]
	;; [unrolled: 1-line block ×3, first 2 shown]
	v_add_f64 v[94:95], v[15:16], -v[19:20]
	v_add_f64 v[15:16], v[19:20], -v[15:16]
	;; [unrolled: 1-line block ×6, first 2 shown]
	v_add_f64 v[37:38], v[58:59], v[37:38]
	v_add_f64 v[58:59], v[70:71], v[74:75]
	;; [unrolled: 1-line block ×7, first 2 shown]
	v_fma_f64 v[35:36], v[60:61], s[10:11], v[29:30]
	v_fma_f64 v[74:75], v[33:34], s[12:13], v[47:48]
	v_fma_f64 v[29:30], v[60:61], s[12:13], v[29:30]
	v_fma_f64 v[47:48], v[33:34], s[10:11], v[47:48]
	v_fma_f64 v[76:77], v[64:65], s[12:13], v[0:1]
	v_fma_f64 v[80:81], v[78:79], s[10:11], v[2:3]
	v_fma_f64 v[0:1], v[64:65], s[10:11], v[0:1]
	v_fma_f64 v[2:3], v[78:79], s[12:13], v[2:3]
	v_fma_f64 v[82:83], v[92:93], s[10:11], v[49:50]
	v_fma_f64 v[49:50], v[92:93], s[12:13], v[49:50]
	v_fma_f64 v[84:85], v[13:14], s[12:13], v[56:57]
	v_fma_f64 v[86:87], v[96:97], s[12:13], v[4:5]
	v_fma_f64 v[4:5], v[96:97], s[10:11], v[4:5]
	v_fma_f64 v[88:89], v[31:32], s[10:11], v[6:7]
	v_fma_f64 v[6:7], v[31:32], s[12:13], v[6:7]
	v_fma_f64 v[56:57], v[13:14], s[10:11], v[56:57]
	v_add_f64 v[68:69], v[98:99], v[102:103]
	v_add_f64 v[72:73], v[100:101], v[104:105]
	;; [unrolled: 1-line block ×8, first 2 shown]
	v_fma_f64 v[21:22], v[64:65], s[4:5], v[35:36]
	v_fma_f64 v[25:26], v[78:79], s[6:7], v[74:75]
	;; [unrolled: 1-line block ×16, first 2 shown]
	v_and_b32_e32 v86, 0xffff, v110
	v_add_f64 v[2:3], v[9:10], v[11:12]
	v_add_f64 v[0:1], v[15:16], v[45:46]
	;; [unrolled: 1-line block ×4, first 2 shown]
	v_fma_f64 v[4:5], v[58:59], s[0:1], v[21:22]
	v_fma_f64 v[6:7], v[62:63], s[0:1], v[25:26]
	v_fma_f64 v[32:33], v[58:59], s[0:1], v[29:30]
	v_fma_f64 v[34:35], v[62:63], s[0:1], v[40:41]
	v_fma_f64 v[20:21], v[70:71], s[0:1], v[42:43]
	v_fma_f64 v[22:23], v[66:67], s[0:1], v[47:48]
	v_fma_f64 v[28:29], v[70:71], s[0:1], v[60:61]
	v_fma_f64 v[30:31], v[66:67], s[0:1], v[64:65]
	v_fma_f64 v[12:13], v[68:69], s[0:1], v[74:75]
	v_fma_f64 v[24:25], v[68:69], s[0:1], v[49:50]
	v_fma_f64 v[14:15], v[90:91], s[0:1], v[76:77]
	v_fma_f64 v[16:17], v[72:73], s[0:1], v[78:79]
	v_fma_f64 v[40:41], v[72:73], s[0:1], v[80:81]
	v_fma_f64 v[18:19], v[94:95], s[0:1], v[82:83]
	v_fma_f64 v[42:43], v[94:95], s[0:1], v[84:85]
	v_fma_f64 v[26:27], v[90:91], s[0:1], v[56:57]
	v_mad_u32_u24 v9, 0x320, v51, 0
	v_mad_u32_u24 v10, 0x320, v86, 0
	v_lshlrev_b32_sdwa v11, v112, v111 dst_sel:DWORD dst_unused:UNUSED_PAD src0_sel:DWORD src1_sel:BYTE_0
	v_cmp_gt_u32_e64 s0, 50, v52
                                        ; implicit-def: $vgpr46_vgpr47
                                        ; implicit-def: $vgpr50_vgpr51
	v_add3_u32 v8, v9, v8, v44
	v_add3_u32 v9, v10, v11, v44
	ds_write_b128 v8, v[0:3]
	ds_write_b128 v8, v[4:7] offset:160
	ds_write_b128 v8, v[20:23] offset:320
	;; [unrolled: 1-line block ×4, first 2 shown]
	ds_write_b128 v9, v[36:39]
	ds_write_b128 v9, v[12:15] offset:160
	ds_write_b128 v9, v[16:19] offset:320
	ds_write_b128 v9, v[40:43] offset:480
	ds_write_b128 v9, v[24:27] offset:640
	s_waitcnt lgkmcnt(0)
	s_barrier
	buffer_gl0_inv
                                        ; implicit-def: $vgpr10_vgpr11
	s_and_saveexec_b32 s1, s0
	s_cbranch_execz .LBB0_18
; %bb.17:
	ds_read_b128 v[0:3], v165
	ds_read_b128 v[4:7], v53 offset:800
	ds_read_b128 v[20:23], v53 offset:1600
	;; [unrolled: 1-line block ×12, first 2 shown]
.LBB0_18:
	s_or_b32 exec_lo, exec_lo, s1
	s_waitcnt lgkmcnt(0)
	s_barrier
	buffer_gl0_inv
	s_and_saveexec_b32 s33, s0
	s_cbranch_execz .LBB0_20
; %bb.19:
	v_subrev_nc_u32_e32 v56, 50, v52
	v_mov_b32_e32 v57, 0
	s_mov_b32 s12, 0x24c2f84
	s_mov_b32 s13, 0xbfe5384d
	s_mov_b32 s4, 0xd0032e0c
	v_cndmask_b32_e64 v56, v56, v52, s0
	s_mov_b32 s5, 0xbfe7f3cc
	s_mov_b32 s29, 0x3fddbe06
	;; [unrolled: 1-line block ×4, first 2 shown]
	v_mul_i32_i24_e32 v56, 12, v56
	s_mov_b32 s16, 0x2ef20147
	s_mov_b32 s26, 0x42a4c3d2
	;; [unrolled: 1-line block ×4, first 2 shown]
	v_lshlrev_b64 v[56:57], 4, v[56:57]
	s_mov_b32 s17, 0xbfedeba7
	s_mov_b32 s27, 0x3fea55e2
	;; [unrolled: 1-line block ×5, first 2 shown]
	v_add_co_u32 v82, s0, s8, v56
	v_add_co_ci_u32_e64 v83, s0, s9, v57, s0
	s_mov_b32 s20, s26
	s_mov_b32 s18, s24
	;; [unrolled: 1-line block ×3, first 2 shown]
	s_clause 0x1
	global_load_dwordx4 v[58:61], v[82:83], off offset:704
	global_load_dwordx4 v[62:65], v[82:83], off offset:720
	s_mov_b32 s0, 0xb2365da1
	s_mov_b32 s10, 0x1ea71119
	;; [unrolled: 1-line block ×11, first 2 shown]
	s_waitcnt vmcnt(1)
	v_mul_f64 v[56:57], v[38:39], v[60:61]
	v_fma_f64 v[56:57], v[36:37], v[58:59], v[56:57]
	v_mul_f64 v[36:37], v[36:37], v[60:61]
	v_fma_f64 v[38:39], v[38:39], v[58:59], -v[36:37]
	s_clause 0x1
	global_load_dwordx4 v[58:61], v[82:83], off offset:752
	global_load_dwordx4 v[66:69], v[82:83], off offset:736
	s_waitcnt vmcnt(1)
	v_mul_f64 v[36:37], v[42:43], v[60:61]
	v_fma_f64 v[36:37], v[40:41], v[58:59], v[36:37]
	v_mul_f64 v[40:41], v[40:41], v[60:61]
	v_fma_f64 v[40:41], v[42:43], v[58:59], -v[40:41]
	s_clause 0x1
	global_load_dwordx4 v[58:61], v[82:83], off offset:688
	global_load_dwordx4 v[70:73], v[82:83], off offset:672
	s_waitcnt vmcnt(1)
	v_mul_f64 v[42:43], v[34:35], v[60:61]
	v_fma_f64 v[42:43], v[32:33], v[58:59], v[42:43]
	v_mul_f64 v[32:33], v[32:33], v[60:61]
	v_fma_f64 v[32:33], v[34:35], v[58:59], -v[32:33]
	s_waitcnt vmcnt(0)
	v_mul_f64 v[34:35], v[30:31], v[72:73]
	v_fma_f64 v[34:35], v[28:29], v[70:71], v[34:35]
	v_mul_f64 v[28:29], v[28:29], v[72:73]
	v_fma_f64 v[28:29], v[30:31], v[70:71], -v[28:29]
	s_clause 0x1
	global_load_dwordx4 v[58:61], v[82:83], off offset:784
	global_load_dwordx4 v[70:73], v[82:83], off offset:768
	s_waitcnt vmcnt(1)
	v_mul_f64 v[30:31], v[50:51], v[60:61]
	v_fma_f64 v[30:31], v[48:49], v[58:59], v[30:31]
	v_mul_f64 v[48:49], v[48:49], v[60:61]
	v_fma_f64 v[48:49], v[50:51], v[58:59], -v[48:49]
	s_clause 0x3
	global_load_dwordx4 v[58:61], v[82:83], off offset:656
	global_load_dwordx4 v[74:77], v[82:83], off offset:640
	;; [unrolled: 1-line block ×4, first 2 shown]
	s_waitcnt vmcnt(3)
	v_mul_f64 v[50:51], v[22:23], v[60:61]
	v_fma_f64 v[50:51], v[20:21], v[58:59], v[50:51]
	v_mul_f64 v[20:21], v[20:21], v[60:61]
	v_fma_f64 v[58:59], v[22:23], v[58:59], -v[20:21]
	s_waitcnt vmcnt(1)
	v_mul_f64 v[20:21], v[46:47], v[80:81]
	v_mul_f64 v[22:23], v[44:45], v[80:81]
	v_fma_f64 v[20:21], v[44:45], v[78:79], v[20:21]
	v_mul_f64 v[44:45], v[26:27], v[72:73]
	v_fma_f64 v[22:23], v[46:47], v[78:79], -v[22:23]
	v_add_f64 v[78:79], v[34:35], -v[30:31]
	v_fma_f64 v[44:45], v[24:25], v[70:71], v[44:45]
	v_mul_f64 v[24:25], v[24:25], v[72:73]
	v_add_f64 v[80:81], v[58:59], -v[22:23]
	v_mul_f64 v[122:123], v[78:79], s[28:29]
	v_fma_f64 v[24:25], v[26:27], v[70:71], -v[24:25]
	v_mul_f64 v[26:27], v[14:15], v[64:65]
	v_add_f64 v[72:73], v[32:33], -v[24:25]
	v_fma_f64 v[26:27], v[12:13], v[62:63], v[26:27]
	v_mul_f64 v[12:13], v[12:13], v[64:65]
	v_add_f64 v[64:65], v[38:39], -v[40:41]
	v_mul_f64 v[110:111], v[72:73], s[28:29]
	v_fma_f64 v[60:61], v[14:15], v[62:63], -v[12:13]
	v_mul_f64 v[12:13], v[18:19], v[68:69]
	v_mul_f64 v[172:173], v[64:65], s[16:17]
	v_fma_f64 v[46:47], v[16:17], v[66:67], v[12:13]
	v_mul_f64 v[12:13], v[16:17], v[68:69]
	v_add_f64 v[68:69], v[56:57], -v[36:37]
	v_fma_f64 v[16:17], v[18:19], v[66:67], -v[12:13]
	v_mul_f64 v[12:13], v[6:7], v[76:77]
	v_add_f64 v[66:67], v[26:27], -v[46:47]
	v_mul_f64 v[14:15], v[68:69], s[28:29]
	v_add_f64 v[70:71], v[60:61], -v[16:17]
	v_fma_f64 v[88:89], v[4:5], v[74:75], v[12:13]
	v_mul_f64 v[4:5], v[4:5], v[76:77]
	v_add_f64 v[76:77], v[28:29], -v[48:49]
	v_mul_f64 v[12:13], v[64:65], s[28:29]
	v_mul_f64 v[176:177], v[66:67], s[24:25]
	;; [unrolled: 1-line block ×4, first 2 shown]
	v_fma_f64 v[4:5], v[6:7], v[74:75], -v[4:5]
	s_waitcnt vmcnt(0)
	v_mul_f64 v[6:7], v[10:11], v[84:85]
	v_add_f64 v[74:75], v[42:43], -v[44:45]
	v_mul_f64 v[120:121], v[76:77], s[28:29]
	v_fma_f64 v[18:19], v[8:9], v[82:83], v[6:7]
	v_mul_f64 v[6:7], v[8:9], v[84:85]
	v_mul_f64 v[8:9], v[80:81], s[28:29]
	v_mul_f64 v[112:113], v[74:75], s[28:29]
	v_mul_f64 v[84:85], v[66:67], s[28:29]
	v_add_f64 v[132:133], v[88:89], v[18:19]
	v_fma_f64 v[62:63], v[10:11], v[82:83], -v[6:7]
	v_add_f64 v[10:11], v[88:89], -v[18:19]
	v_add_f64 v[82:83], v[50:51], -v[20:21]
	v_add_f64 v[100:101], v[4:5], v[62:63]
	v_mul_f64 v[92:93], v[10:11], s[12:13]
	v_mul_f64 v[6:7], v[82:83], s[28:29]
	s_mov_b32 s29, 0xbfddbe06
	v_mul_f64 v[90:91], v[10:11], s[14:15]
	v_mul_f64 v[94:95], v[10:11], s[16:17]
	;; [unrolled: 1-line block ×5, first 2 shown]
	v_fma_f64 v[104:105], v[100:101], s[4:5], v[92:93]
	v_fma_f64 v[106:107], v[100:101], s[4:5], -v[92:93]
	v_add_f64 v[92:93], v[4:5], -v[62:63]
	v_fma_f64 v[102:103], v[100:101], s[6:7], v[90:91]
	v_fma_f64 v[90:91], v[100:101], s[6:7], -v[90:91]
	v_fma_f64 v[108:109], v[100:101], s[0:1], v[94:95]
	v_fma_f64 v[114:115], v[100:101], s[0:1], -v[94:95]
	;; [unrolled: 2-line block ×5, first 2 shown]
	v_add_f64 v[168:169], v[2:3], v[104:105]
	v_add_f64 v[154:155], v[2:3], v[106:107]
	v_mul_f64 v[128:129], v[92:93], s[18:19]
	v_mul_f64 v[94:95], v[92:93], s[14:15]
	;; [unrolled: 1-line block ×6, first 2 shown]
	v_add_f64 v[162:163], v[2:3], v[90:91]
	v_add_f64 v[150:151], v[2:3], v[108:109]
	;; [unrolled: 1-line block ×4, first 2 shown]
	s_mov_b32 s29, 0x3fcea1e5
	s_mov_b32 s28, s14
	v_fma_f64 v[142:143], v[132:133], s[8:9], -v[128:129]
	v_fma_f64 v[134:135], v[132:133], s[6:7], -v[94:95]
	v_fma_f64 v[136:137], v[132:133], s[6:7], v[94:95]
	v_fma_f64 v[138:139], v[132:133], s[4:5], -v[100:101]
	v_fma_f64 v[100:101], v[132:133], s[4:5], v[100:101]
	;; [unrolled: 2-line block ×3, first 2 shown]
	v_fma_f64 v[128:129], v[132:133], s[8:9], v[128:129]
	v_fma_f64 v[144:145], v[132:133], s[10:11], -v[130:131]
	v_fma_f64 v[156:157], v[132:133], s[10:11], v[130:131]
	v_fma_f64 v[158:159], v[132:133], s[22:23], -v[92:93]
	v_fma_f64 v[160:161], v[132:133], s[22:23], v[92:93]
	v_add_f64 v[92:93], v[2:3], v[4:5]
	v_add_f64 v[94:95], v[0:1], v[88:89]
	;; [unrolled: 1-line block ×24, first 2 shown]
	v_fma_f64 v[2:3], v[98:99], s[22:23], -v[8:9]
	v_mul_f64 v[156:157], v[74:75], s[26:27]
	v_mul_f64 v[158:159], v[72:73], s[26:27]
	v_fma_f64 v[8:9], v[98:99], s[22:23], v[8:9]
	v_mul_f64 v[160:161], v[68:69], s[16:17]
	v_add_f64 v[58:59], v[92:93], v[58:59]
	v_fma_f64 v[0:1], v[96:97], s[22:23], v[6:7]
	v_fma_f64 v[6:7], v[96:97], s[22:23], -v[6:7]
	v_add_f64 v[50:51], v[94:95], v[50:51]
	v_add_f64 v[2:3], v[2:3], v[102:103]
	;; [unrolled: 1-line block ×6, first 2 shown]
	v_mul_f64 v[4:5], v[78:79], s[12:13]
	v_add_f64 v[6:7], v[6:7], v[162:163]
	v_add_f64 v[34:35], v[50:51], v[34:35]
	;; [unrolled: 1-line block ×3, first 2 shown]
	v_fma_f64 v[10:11], v[100:101], s[4:5], v[4:5]
	v_fma_f64 v[4:5], v[100:101], s[4:5], -v[4:5]
	v_add_f64 v[28:29], v[28:29], v[38:39]
	v_add_f64 v[0:1], v[10:11], v[0:1]
	v_mul_f64 v[10:11], v[76:77], s[12:13]
	v_add_f64 v[4:5], v[4:5], v[6:7]
	v_add_f64 v[28:29], v[28:29], v[60:61]
	v_fma_f64 v[104:105], v[102:103], s[4:5], -v[10:11]
	v_fma_f64 v[6:7], v[102:103], s[4:5], v[10:11]
	v_fma_f64 v[10:11], v[118:119], s[8:9], v[178:179]
	v_add_f64 v[2:3], v[104:105], v[2:3]
	v_add_f64 v[104:105], v[32:33], v[24:25]
	;; [unrolled: 1-line block ×4, first 2 shown]
	v_fma_f64 v[106:107], v[104:105], s[10:11], v[156:157]
	v_fma_f64 v[8:9], v[104:105], s[10:11], -v[156:157]
	v_mul_f64 v[156:157], v[82:83], s[24:25]
	v_add_f64 v[32:33], v[32:33], v[56:57]
	v_add_f64 v[0:1], v[106:107], v[0:1]
	v_add_f64 v[106:107], v[42:43], v[44:45]
	v_add_f64 v[4:5], v[8:9], v[4:5]
	v_add_f64 v[26:27], v[32:33], v[26:27]
	v_fma_f64 v[108:109], v[106:107], s[10:11], -v[158:159]
	v_fma_f64 v[8:9], v[106:107], s[10:11], v[158:159]
	v_mul_f64 v[158:159], v[80:81], s[24:25]
	v_add_f64 v[26:27], v[26:27], v[46:47]
	v_add_f64 v[2:3], v[108:109], v[2:3]
	;; [unrolled: 1-line block ×5, first 2 shown]
	v_fma_f64 v[114:115], v[108:109], s[0:1], v[160:161]
	v_fma_f64 v[8:9], v[108:109], s[0:1], -v[160:161]
	v_mul_f64 v[160:161], v[78:79], s[20:21]
	v_add_f64 v[0:1], v[114:115], v[0:1]
	v_add_f64 v[114:115], v[56:57], v[36:37]
	;; [unrolled: 1-line block ×3, first 2 shown]
	v_fma_f64 v[162:163], v[100:101], s[10:11], v[160:161]
	v_fma_f64 v[116:117], v[114:115], s[0:1], -v[172:173]
	v_fma_f64 v[8:9], v[114:115], s[0:1], v[172:173]
	v_mul_f64 v[172:173], v[66:67], s[16:17]
	v_add_f64 v[174:175], v[116:117], v[2:3]
	v_add_f64 v[116:117], v[60:61], v[16:17]
	;; [unrolled: 1-line block ×4, first 2 shown]
	v_fma_f64 v[6:7], v[116:117], s[8:9], -v[176:177]
	v_fma_f64 v[2:3], v[116:117], s[8:9], v[176:177]
	v_add_f64 v[16:17], v[16:17], v[40:41]
	v_add_f64 v[6:7], v[6:7], v[4:5]
	;; [unrolled: 1-line block ×3, first 2 shown]
	v_fma_f64 v[8:9], v[96:97], s[8:9], v[156:157]
	v_fma_f64 v[10:11], v[98:99], s[8:9], -v[158:159]
	v_fma_f64 v[156:157], v[96:97], s[8:9], -v[156:157]
	v_add_f64 v[2:3], v[2:3], v[0:1]
	v_fma_f64 v[0:1], v[118:119], s[8:9], -v[178:179]
	v_add_f64 v[16:17], v[16:17], v[24:25]
	v_add_f64 v[24:25], v[26:27], v[44:45]
	;; [unrolled: 1-line block ×5, first 2 shown]
	v_fma_f64 v[156:157], v[98:99], s[8:9], v[158:159]
	v_add_f64 v[0:1], v[0:1], v[174:175]
	v_mul_f64 v[174:175], v[70:71], s[16:17]
	v_add_f64 v[16:17], v[16:17], v[48:49]
	v_add_f64 v[24:25], v[24:25], v[30:31]
	;; [unrolled: 1-line block ×3, first 2 shown]
	v_mul_f64 v[162:163], v[76:77], s[20:21]
	v_add_f64 v[152:153], v[156:157], v[152:153]
	v_fma_f64 v[156:157], v[100:101], s[10:11], -v[160:161]
	v_add_f64 v[16:17], v[16:17], v[22:23]
	v_add_f64 v[22:23], v[24:25], v[20:21]
	v_fma_f64 v[166:167], v[102:103], s[10:11], -v[162:163]
	v_add_f64 v[154:155], v[156:157], v[154:155]
	v_fma_f64 v[156:157], v[102:103], s[10:11], v[162:163]
	v_add_f64 v[20:21], v[16:17], v[62:63]
	v_add_f64 v[18:19], v[22:23], v[18:19]
	;; [unrolled: 1-line block ×3, first 2 shown]
	v_mul_f64 v[166:167], v[74:75], s[28:29]
	v_add_f64 v[152:153], v[156:157], v[152:153]
	v_fma_f64 v[168:169], v[104:105], s[6:7], v[166:167]
	v_fma_f64 v[156:157], v[104:105], s[6:7], -v[166:167]
	v_add_f64 v[8:9], v[168:169], v[8:9]
	v_mul_f64 v[168:169], v[72:73], s[28:29]
	v_add_f64 v[154:155], v[156:157], v[154:155]
	v_fma_f64 v[170:171], v[106:107], s[6:7], -v[168:169]
	v_fma_f64 v[156:157], v[106:107], s[6:7], v[168:169]
	v_add_f64 v[10:11], v[170:171], v[10:11]
	v_fma_f64 v[170:171], v[108:109], s[22:23], v[14:15]
	v_add_f64 v[152:153], v[156:157], v[152:153]
	v_fma_f64 v[14:15], v[108:109], s[22:23], -v[14:15]
	v_add_f64 v[8:9], v[170:171], v[8:9]
	v_fma_f64 v[170:171], v[114:115], s[22:23], -v[12:13]
	v_fma_f64 v[12:13], v[114:115], s[22:23], v[12:13]
	v_add_f64 v[14:15], v[14:15], v[154:155]
	v_fma_f64 v[154:155], v[118:119], s[0:1], v[174:175]
	v_add_f64 v[170:171], v[170:171], v[10:11]
	v_add_f64 v[12:13], v[12:13], v[152:153]
	v_fma_f64 v[152:153], v[116:117], s[0:1], -v[172:173]
	v_fma_f64 v[10:11], v[116:117], s[0:1], v[172:173]
	v_add_f64 v[12:13], v[154:155], v[12:13]
	v_add_f64 v[14:15], v[152:153], v[14:15]
	v_mul_f64 v[152:153], v[82:83], s[30:31]
	v_add_f64 v[10:11], v[10:11], v[8:9]
	v_fma_f64 v[8:9], v[118:119], s[0:1], -v[174:175]
	v_fma_f64 v[154:155], v[96:97], s[4:5], v[152:153]
	v_fma_f64 v[152:153], v[96:97], s[4:5], -v[152:153]
	v_add_f64 v[8:9], v[8:9], v[170:171]
	v_add_f64 v[150:151], v[154:155], v[150:151]
	v_mul_f64 v[154:155], v[80:81], s[30:31]
	v_add_f64 v[138:139], v[152:153], v[138:139]
	v_fma_f64 v[156:157], v[98:99], s[4:5], -v[154:155]
	v_fma_f64 v[152:153], v[98:99], s[4:5], v[154:155]
	v_add_f64 v[148:149], v[156:157], v[148:149]
	v_fma_f64 v[156:157], v[100:101], s[22:23], v[122:123]
	v_add_f64 v[136:137], v[152:153], v[136:137]
	v_fma_f64 v[122:123], v[100:101], s[22:23], -v[122:123]
	v_add_f64 v[150:151], v[156:157], v[150:151]
	v_fma_f64 v[156:157], v[102:103], s[22:23], -v[120:121]
	v_fma_f64 v[120:121], v[102:103], s[22:23], v[120:121]
	v_add_f64 v[122:123], v[122:123], v[138:139]
	v_add_f64 v[148:149], v[156:157], v[148:149]
	v_mul_f64 v[156:157], v[74:75], s[18:19]
	v_add_f64 v[120:121], v[120:121], v[136:137]
	v_fma_f64 v[158:159], v[104:105], s[8:9], v[156:157]
	v_fma_f64 v[136:137], v[104:105], s[8:9], -v[156:157]
	v_add_f64 v[150:151], v[158:159], v[150:151]
	v_mul_f64 v[158:159], v[72:73], s[18:19]
	v_add_f64 v[122:123], v[136:137], v[122:123]
	v_fma_f64 v[160:161], v[106:107], s[8:9], -v[158:159]
	v_fma_f64 v[136:137], v[106:107], s[8:9], v[158:159]
	v_add_f64 v[148:149], v[160:161], v[148:149]
	v_mul_f64 v[160:161], v[68:69], s[28:29]
	v_add_f64 v[120:121], v[136:137], v[120:121]
	v_fma_f64 v[162:163], v[108:109], s[6:7], v[160:161]
	v_fma_f64 v[136:137], v[108:109], s[6:7], -v[160:161]
	v_add_f64 v[150:151], v[162:163], v[150:151]
	v_mul_f64 v[162:163], v[64:65], s[28:29]
	v_add_f64 v[122:123], v[136:137], v[122:123]
	v_fma_f64 v[166:167], v[114:115], s[6:7], -v[162:163]
	v_fma_f64 v[136:137], v[114:115], s[6:7], v[162:163]
	;; [unrolled: 10-line block ×3, first 2 shown]
	v_add_f64 v[148:149], v[170:171], v[148:149]
	v_mul_f64 v[170:171], v[82:83], s[16:17]
	v_add_f64 v[120:121], v[138:139], v[120:121]
	v_fma_f64 v[172:173], v[96:97], s[0:1], -v[170:171]
	v_add_f64 v[146:147], v[172:173], v[146:147]
	v_mul_f64 v[172:173], v[80:81], s[16:17]
	v_fma_f64 v[174:175], v[98:99], s[0:1], v[172:173]
	v_add_f64 v[144:145], v[174:175], v[144:145]
	v_mul_f64 v[174:175], v[78:79], s[14:15]
	v_fma_f64 v[176:177], v[100:101], s[6:7], -v[174:175]
	v_add_f64 v[146:147], v[176:177], v[146:147]
	v_mul_f64 v[176:177], v[76:77], s[14:15]
	v_fma_f64 v[178:179], v[102:103], s[6:7], v[176:177]
	v_add_f64 v[144:145], v[178:179], v[144:145]
	v_mul_f64 v[178:179], v[74:75], s[30:31]
	v_mul_f64 v[74:75], v[74:75], s[16:17]
	v_fma_f64 v[180:181], v[104:105], s[4:5], -v[178:179]
	v_fma_f64 v[28:29], v[104:105], s[0:1], v[74:75]
	v_add_f64 v[146:147], v[180:181], v[146:147]
	v_mul_f64 v[180:181], v[72:73], s[30:31]
	v_mul_f64 v[72:73], v[72:73], s[16:17]
	v_fma_f64 v[182:183], v[106:107], s[4:5], v[180:181]
	v_fma_f64 v[30:31], v[106:107], s[0:1], -v[72:73]
	v_add_f64 v[144:145], v[182:183], v[144:145]
	v_mul_f64 v[182:183], v[68:69], s[24:25]
	v_fma_f64 v[184:185], v[108:109], s[8:9], -v[182:183]
	v_add_f64 v[146:147], v[184:185], v[146:147]
	v_mul_f64 v[184:185], v[64:65], s[24:25]
	s_mov_b32 s25, 0x3fedeba7
	s_mov_b32 s24, s16
	v_fma_f64 v[186:187], v[114:115], s[8:9], v[184:185]
	v_add_f64 v[144:145], v[186:187], v[144:145]
	v_fma_f64 v[186:187], v[116:117], s[22:23], -v[84:85]
	v_fma_f64 v[84:85], v[116:117], s[22:23], v[84:85]
	v_add_f64 v[146:147], v[186:187], v[146:147]
	v_fma_f64 v[186:187], v[118:119], s[22:23], v[86:87]
	v_add_f64 v[144:145], v[186:187], v[144:145]
	v_mul_f64 v[186:187], v[82:83], s[14:15]
	v_mul_f64 v[82:83], v[82:83], s[20:21]
	v_fma_f64 v[188:189], v[96:97], s[6:7], -v[186:187]
	v_fma_f64 v[136:137], v[96:97], s[6:7], v[186:187]
	v_fma_f64 v[16:17], v[96:97], s[10:11], v[82:83]
	v_add_f64 v[142:143], v[188:189], v[142:143]
	v_mul_f64 v[188:189], v[80:81], s[14:15]
	v_add_f64 v[134:135], v[136:137], v[134:135]
	v_mul_f64 v[80:81], v[80:81], s[20:21]
	v_add_f64 v[16:17], v[16:17], v[88:89]
	v_fma_f64 v[190:191], v[98:99], s[6:7], v[188:189]
	v_fma_f64 v[136:137], v[98:99], s[6:7], -v[188:189]
	v_fma_f64 v[22:23], v[98:99], s[10:11], -v[80:81]
	v_add_f64 v[140:141], v[190:191], v[140:141]
	v_mul_f64 v[190:191], v[78:79], s[24:25]
	v_add_f64 v[132:133], v[136:137], v[132:133]
	v_mul_f64 v[78:79], v[78:79], s[18:19]
	v_add_f64 v[22:23], v[22:23], v[90:91]
	v_fma_f64 v[192:193], v[100:101], s[0:1], -v[190:191]
	v_fma_f64 v[136:137], v[100:101], s[0:1], v[190:191]
	v_fma_f64 v[24:25], v[100:101], s[8:9], v[78:79]
	v_add_f64 v[142:143], v[192:193], v[142:143]
	v_mul_f64 v[192:193], v[76:77], s[24:25]
	v_add_f64 v[134:135], v[136:137], v[134:135]
	v_mul_f64 v[76:77], v[76:77], s[18:19]
	v_add_f64 v[16:17], v[24:25], v[16:17]
	v_fma_f64 v[194:195], v[102:103], s[0:1], v[192:193]
	v_fma_f64 v[136:137], v[102:103], s[0:1], -v[192:193]
	v_fma_f64 v[26:27], v[102:103], s[8:9], -v[76:77]
	v_add_f64 v[16:17], v[28:29], v[16:17]
	v_add_f64 v[140:141], v[194:195], v[140:141]
	v_fma_f64 v[194:195], v[104:105], s[22:23], -v[112:113]
	v_add_f64 v[132:133], v[136:137], v[132:133]
	v_fma_f64 v[112:113], v[104:105], s[22:23], v[112:113]
	v_add_f64 v[22:23], v[26:27], v[22:23]
	v_add_f64 v[142:143], v[194:195], v[142:143]
	v_fma_f64 v[194:195], v[106:107], s[22:23], v[110:111]
	v_fma_f64 v[110:111], v[106:107], s[22:23], -v[110:111]
	v_add_f64 v[112:113], v[112:113], v[134:135]
	v_add_f64 v[22:23], v[30:31], v[22:23]
	;; [unrolled: 1-line block ×3, first 2 shown]
	v_mul_f64 v[194:195], v[68:69], s[20:21]
	v_add_f64 v[110:111], v[110:111], v[132:133]
	v_mul_f64 v[68:69], v[68:69], s[12:13]
	v_fma_f64 v[196:197], v[108:109], s[10:11], -v[194:195]
	v_fma_f64 v[132:133], v[108:109], s[10:11], v[194:195]
	v_fma_f64 v[24:25], v[108:109], s[4:5], v[68:69]
	v_add_f64 v[142:143], v[196:197], v[142:143]
	v_mul_f64 v[196:197], v[64:65], s[20:21]
	v_add_f64 v[112:113], v[132:133], v[112:113]
	v_add_f64 v[16:17], v[24:25], v[16:17]
	v_fma_f64 v[198:199], v[114:115], s[10:11], v[196:197]
	v_fma_f64 v[132:133], v[114:115], s[10:11], -v[196:197]
	v_add_f64 v[140:141], v[198:199], v[140:141]
	v_mul_f64 v[198:199], v[66:67], s[12:13]
	v_add_f64 v[110:111], v[132:133], v[110:111]
	v_fma_f64 v[132:133], v[116:117], s[4:5], v[198:199]
	v_fma_f64 v[200:201], v[116:117], s[4:5], -v[198:199]
	v_add_f64 v[112:113], v[132:133], v[112:113]
	v_fma_f64 v[132:133], v[96:97], s[0:1], v[170:171]
	v_add_f64 v[142:143], v[200:201], v[142:143]
	v_mul_f64 v[200:201], v[70:71], s[12:13]
	v_mul_f64 v[70:71], v[70:71], s[14:15]
	v_add_f64 v[130:131], v[132:133], v[130:131]
	v_fma_f64 v[132:133], v[98:99], s[0:1], -v[172:173]
	v_fma_f64 v[202:203], v[118:119], s[4:5], v[200:201]
	v_fma_f64 v[134:135], v[118:119], s[4:5], -v[200:201]
	v_fma_f64 v[30:31], v[118:119], s[6:7], -v[70:71]
	v_add_f64 v[128:129], v[132:133], v[128:129]
	v_fma_f64 v[132:133], v[100:101], s[6:7], v[174:175]
	v_add_f64 v[140:141], v[202:203], v[140:141]
	v_add_f64 v[110:111], v[134:135], v[110:111]
	;; [unrolled: 1-line block ×3, first 2 shown]
	v_fma_f64 v[132:133], v[102:103], s[6:7], -v[176:177]
	v_add_f64 v[128:129], v[132:133], v[128:129]
	v_fma_f64 v[132:133], v[104:105], s[4:5], v[178:179]
	v_add_f64 v[130:131], v[132:133], v[130:131]
	v_fma_f64 v[132:133], v[106:107], s[4:5], -v[180:181]
	v_add_f64 v[128:129], v[132:133], v[128:129]
	v_fma_f64 v[132:133], v[108:109], s[8:9], v[182:183]
	v_add_f64 v[130:131], v[132:133], v[130:131]
	v_fma_f64 v[132:133], v[114:115], s[8:9], -v[184:185]
	v_add_f64 v[128:129], v[132:133], v[128:129]
	v_fma_f64 v[132:133], v[118:119], s[22:23], -v[86:87]
	v_add_f64 v[86:87], v[84:85], v[130:131]
	v_add_f64 v[84:85], v[132:133], v[128:129]
	v_fma_f64 v[128:129], v[96:97], s[10:11], -v[82:83]
	v_add_f64 v[126:127], v[128:129], v[126:127]
	v_fma_f64 v[128:129], v[98:99], s[10:11], v[80:81]
	v_add_f64 v[124:125], v[128:129], v[124:125]
	v_fma_f64 v[128:129], v[100:101], s[8:9], -v[78:79]
	v_add_f64 v[126:127], v[128:129], v[126:127]
	v_fma_f64 v[128:129], v[102:103], s[8:9], v[76:77]
	;; [unrolled: 4-line block ×3, first 2 shown]
	v_add_f64 v[124:125], v[128:129], v[124:125]
	v_fma_f64 v[128:129], v[108:109], s[4:5], -v[68:69]
	v_add_f64 v[126:127], v[128:129], v[126:127]
	v_mul_f64 v[128:129], v[64:65], s[12:13]
	v_fma_f64 v[64:65], v[114:115], s[4:5], v[128:129]
	v_fma_f64 v[26:27], v[114:115], s[4:5], -v[128:129]
	v_add_f64 v[64:65], v[64:65], v[124:125]
	v_mul_f64 v[124:125], v[66:67], s[14:15]
	v_add_f64 v[22:23], v[26:27], v[22:23]
	v_fma_f64 v[66:67], v[116:117], s[6:7], -v[124:125]
	v_fma_f64 v[28:29], v[116:117], s[6:7], v[124:125]
	v_add_f64 v[22:23], v[30:31], v[22:23]
	v_add_f64 v[66:67], v[66:67], v[126:127]
	v_fma_f64 v[126:127], v[118:119], s[6:7], v[70:71]
	v_add_f64 v[24:25], v[28:29], v[16:17]
	v_add_f64 v[64:65], v[126:127], v[64:65]
	ds_write_b128 v53, v[144:147] offset:1600
	ds_write_b128 v53, v[140:143] offset:2400
	;; [unrolled: 1-line block ×11, first 2 shown]
	ds_write_b128 v165, v[18:21]
	ds_write_b128 v53, v[22:25] offset:9600
.LBB0_20:
	s_or_b32 exec_lo, exec_lo, s33
	s_waitcnt lgkmcnt(0)
	s_barrier
	buffer_gl0_inv
	s_and_saveexec_b32 s0, vcc_lo
	s_cbranch_execz .LBB0_22
; %bb.21:
	v_mov_b32_e32 v53, 0
	v_lshl_add_u32 v30, v52, 4, v164
	v_add_nc_u32_e32 v8, 0x41, v52
	v_add_co_u32 v31, vcc_lo, s2, v54
	v_mov_b32_e32 v9, v53
	v_lshlrev_b64 v[12:13], 4, v[52:53]
	ds_read_b128 v[0:3], v30
	ds_read_b128 v[4:7], v30 offset:1040
	v_add_co_ci_u32_e32 v32, vcc_lo, s3, v55, vcc_lo
	v_lshlrev_b64 v[14:15], 4, v[8:9]
	ds_read_b128 v[8:11], v30 offset:2080
	v_add_nc_u32_e32 v16, 0x82, v52
	v_mov_b32_e32 v17, v53
	v_add_co_u32 v20, vcc_lo, v31, v12
	v_add_co_ci_u32_e32 v21, vcc_lo, v32, v13, vcc_lo
	v_lshlrev_b64 v[12:13], 4, v[16:17]
	v_add_nc_u32_e32 v16, 0xc3, v52
	v_add_co_u32 v22, vcc_lo, v31, v14
	v_add_co_ci_u32_e32 v23, vcc_lo, v32, v15, vcc_lo
	v_lshlrev_b64 v[26:27], 4, v[16:17]
	ds_read_b128 v[16:19], v30 offset:4160
	v_add_co_u32 v24, vcc_lo, v31, v12
	v_add_nc_u32_e32 v28, 0x104, v52
	v_mov_b32_e32 v29, v53
	v_add_co_ci_u32_e32 v25, vcc_lo, v32, v13, vcc_lo
	ds_read_b128 v[12:15], v30 offset:3120
	s_waitcnt lgkmcnt(4)
	global_store_dwordx4 v[20:21], v[0:3], off
	s_waitcnt lgkmcnt(3)
	global_store_dwordx4 v[22:23], v[4:7], off
	;; [unrolled: 2-line block ×3, first 2 shown]
	v_lshlrev_b64 v[0:1], 4, v[28:29]
	v_add_co_u32 v2, vcc_lo, v31, v26
	v_add_co_ci_u32_e32 v3, vcc_lo, v32, v27, vcc_lo
	v_add_nc_u32_e32 v4, 0x145, v52
	v_mov_b32_e32 v5, v53
	v_add_co_u32 v6, vcc_lo, v31, v0
	v_add_co_ci_u32_e32 v7, vcc_lo, v32, v1, vcc_lo
	v_add_nc_u32_e32 v8, 0x186, v52
	v_mov_b32_e32 v9, v53
	v_lshlrev_b64 v[4:5], 4, v[4:5]
	s_waitcnt lgkmcnt(1)
	global_store_dwordx4 v[6:7], v[16:19], off
	v_add_nc_u32_e32 v24, 0x208, v52
	v_mov_b32_e32 v25, v53
	v_lshlrev_b64 v[6:7], 4, v[8:9]
	s_waitcnt lgkmcnt(0)
	global_store_dwordx4 v[2:3], v[12:15], off
	v_add_co_u32 v20, vcc_lo, v31, v4
	v_add_nc_u32_e32 v12, 0x1c7, v52
	v_mov_b32_e32 v13, v53
	v_add_co_ci_u32_e32 v21, vcc_lo, v32, v5, vcc_lo
	v_add_co_u32 v22, vcc_lo, v31, v6
	ds_read_b128 v[0:3], v30 offset:5200
	v_add_co_ci_u32_e32 v23, vcc_lo, v32, v7, vcc_lo
	ds_read_b128 v[4:7], v30 offset:6240
	ds_read_b128 v[8:11], v30 offset:7280
	v_lshlrev_b64 v[26:27], 4, v[12:13]
	ds_read_b128 v[12:15], v30 offset:8320
	ds_read_b128 v[16:19], v30 offset:9360
	v_add_nc_u32_e32 v52, 0x249, v52
	v_lshlrev_b64 v[24:25], 4, v[24:25]
	v_add_co_u32 v26, vcc_lo, v31, v26
	v_lshlrev_b64 v[28:29], 4, v[52:53]
	v_add_co_ci_u32_e32 v27, vcc_lo, v32, v27, vcc_lo
	v_add_co_u32 v24, vcc_lo, v31, v24
	v_add_co_ci_u32_e32 v25, vcc_lo, v32, v25, vcc_lo
	v_add_co_u32 v28, vcc_lo, v31, v28
	v_add_co_ci_u32_e32 v29, vcc_lo, v32, v29, vcc_lo
	s_waitcnt lgkmcnt(4)
	global_store_dwordx4 v[20:21], v[0:3], off
	s_waitcnt lgkmcnt(3)
	global_store_dwordx4 v[22:23], v[4:7], off
	;; [unrolled: 2-line block ×5, first 2 shown]
.LBB0_22:
	s_endpgm
	.section	.rodata,"a",@progbits
	.p2align	6, 0x0
	.amdhsa_kernel fft_rtc_back_len650_factors_10_5_13_wgs_195_tpt_65_dp_ip_CI_unitstride_sbrr_C2R_dirReg
		.amdhsa_group_segment_fixed_size 0
		.amdhsa_private_segment_fixed_size 0
		.amdhsa_kernarg_size 88
		.amdhsa_user_sgpr_count 6
		.amdhsa_user_sgpr_private_segment_buffer 1
		.amdhsa_user_sgpr_dispatch_ptr 0
		.amdhsa_user_sgpr_queue_ptr 0
		.amdhsa_user_sgpr_kernarg_segment_ptr 1
		.amdhsa_user_sgpr_dispatch_id 0
		.amdhsa_user_sgpr_flat_scratch_init 0
		.amdhsa_user_sgpr_private_segment_size 0
		.amdhsa_wavefront_size32 1
		.amdhsa_uses_dynamic_stack 0
		.amdhsa_system_sgpr_private_segment_wavefront_offset 0
		.amdhsa_system_sgpr_workgroup_id_x 1
		.amdhsa_system_sgpr_workgroup_id_y 0
		.amdhsa_system_sgpr_workgroup_id_z 0
		.amdhsa_system_sgpr_workgroup_info 0
		.amdhsa_system_vgpr_workitem_id 0
		.amdhsa_next_free_vgpr 204
		.amdhsa_next_free_sgpr 34
		.amdhsa_reserve_vcc 1
		.amdhsa_reserve_flat_scratch 0
		.amdhsa_float_round_mode_32 0
		.amdhsa_float_round_mode_16_64 0
		.amdhsa_float_denorm_mode_32 3
		.amdhsa_float_denorm_mode_16_64 3
		.amdhsa_dx10_clamp 1
		.amdhsa_ieee_mode 1
		.amdhsa_fp16_overflow 0
		.amdhsa_workgroup_processor_mode 1
		.amdhsa_memory_ordered 1
		.amdhsa_forward_progress 0
		.amdhsa_shared_vgpr_count 0
		.amdhsa_exception_fp_ieee_invalid_op 0
		.amdhsa_exception_fp_denorm_src 0
		.amdhsa_exception_fp_ieee_div_zero 0
		.amdhsa_exception_fp_ieee_overflow 0
		.amdhsa_exception_fp_ieee_underflow 0
		.amdhsa_exception_fp_ieee_inexact 0
		.amdhsa_exception_int_div_zero 0
	.end_amdhsa_kernel
	.text
.Lfunc_end0:
	.size	fft_rtc_back_len650_factors_10_5_13_wgs_195_tpt_65_dp_ip_CI_unitstride_sbrr_C2R_dirReg, .Lfunc_end0-fft_rtc_back_len650_factors_10_5_13_wgs_195_tpt_65_dp_ip_CI_unitstride_sbrr_C2R_dirReg
                                        ; -- End function
	.section	.AMDGPU.csdata,"",@progbits
; Kernel info:
; codeLenInByte = 10668
; NumSgprs: 36
; NumVgprs: 204
; ScratchSize: 0
; MemoryBound: 0
; FloatMode: 240
; IeeeMode: 1
; LDSByteSize: 0 bytes/workgroup (compile time only)
; SGPRBlocks: 4
; VGPRBlocks: 25
; NumSGPRsForWavesPerEU: 36
; NumVGPRsForWavesPerEU: 204
; Occupancy: 4
; WaveLimiterHint : 1
; COMPUTE_PGM_RSRC2:SCRATCH_EN: 0
; COMPUTE_PGM_RSRC2:USER_SGPR: 6
; COMPUTE_PGM_RSRC2:TRAP_HANDLER: 0
; COMPUTE_PGM_RSRC2:TGID_X_EN: 1
; COMPUTE_PGM_RSRC2:TGID_Y_EN: 0
; COMPUTE_PGM_RSRC2:TGID_Z_EN: 0
; COMPUTE_PGM_RSRC2:TIDIG_COMP_CNT: 0
	.text
	.p2alignl 6, 3214868480
	.fill 48, 4, 3214868480
	.type	__hip_cuid_ba79092e6832a3fe,@object ; @__hip_cuid_ba79092e6832a3fe
	.section	.bss,"aw",@nobits
	.globl	__hip_cuid_ba79092e6832a3fe
__hip_cuid_ba79092e6832a3fe:
	.byte	0                               ; 0x0
	.size	__hip_cuid_ba79092e6832a3fe, 1

	.ident	"AMD clang version 19.0.0git (https://github.com/RadeonOpenCompute/llvm-project roc-6.4.0 25133 c7fe45cf4b819c5991fe208aaa96edf142730f1d)"
	.section	".note.GNU-stack","",@progbits
	.addrsig
	.addrsig_sym __hip_cuid_ba79092e6832a3fe
	.amdgpu_metadata
---
amdhsa.kernels:
  - .args:
      - .actual_access:  read_only
        .address_space:  global
        .offset:         0
        .size:           8
        .value_kind:     global_buffer
      - .offset:         8
        .size:           8
        .value_kind:     by_value
      - .actual_access:  read_only
        .address_space:  global
        .offset:         16
        .size:           8
        .value_kind:     global_buffer
      - .actual_access:  read_only
        .address_space:  global
        .offset:         24
        .size:           8
        .value_kind:     global_buffer
      - .offset:         32
        .size:           8
        .value_kind:     by_value
      - .actual_access:  read_only
        .address_space:  global
        .offset:         40
        .size:           8
        .value_kind:     global_buffer
      - .actual_access:  read_only
        .address_space:  global
        .offset:         48
        .size:           8
        .value_kind:     global_buffer
      - .offset:         56
        .size:           4
        .value_kind:     by_value
      - .actual_access:  read_only
        .address_space:  global
        .offset:         64
        .size:           8
        .value_kind:     global_buffer
      - .actual_access:  read_only
        .address_space:  global
        .offset:         72
        .size:           8
        .value_kind:     global_buffer
      - .address_space:  global
        .offset:         80
        .size:           8
        .value_kind:     global_buffer
    .group_segment_fixed_size: 0
    .kernarg_segment_align: 8
    .kernarg_segment_size: 88
    .language:       OpenCL C
    .language_version:
      - 2
      - 0
    .max_flat_workgroup_size: 195
    .name:           fft_rtc_back_len650_factors_10_5_13_wgs_195_tpt_65_dp_ip_CI_unitstride_sbrr_C2R_dirReg
    .private_segment_fixed_size: 0
    .sgpr_count:     36
    .sgpr_spill_count: 0
    .symbol:         fft_rtc_back_len650_factors_10_5_13_wgs_195_tpt_65_dp_ip_CI_unitstride_sbrr_C2R_dirReg.kd
    .uniform_work_group_size: 1
    .uses_dynamic_stack: false
    .vgpr_count:     204
    .vgpr_spill_count: 0
    .wavefront_size: 32
    .workgroup_processor_mode: 1
amdhsa.target:   amdgcn-amd-amdhsa--gfx1030
amdhsa.version:
  - 1
  - 2
...

	.end_amdgpu_metadata
